;; amdgpu-corpus repo=ROCm/rocFFT kind=compiled arch=gfx950 opt=O3
	.text
	.amdgcn_target "amdgcn-amd-amdhsa--gfx950"
	.amdhsa_code_object_version 6
	.protected	bluestein_single_fwd_len675_dim1_sp_op_CI_CI ; -- Begin function bluestein_single_fwd_len675_dim1_sp_op_CI_CI
	.globl	bluestein_single_fwd_len675_dim1_sp_op_CI_CI
	.p2align	8
	.type	bluestein_single_fwd_len675_dim1_sp_op_CI_CI,@function
bluestein_single_fwd_len675_dim1_sp_op_CI_CI: ; @bluestein_single_fwd_len675_dim1_sp_op_CI_CI
; %bb.0:
	s_load_dwordx4 s[8:11], s[0:1], 0x28
	v_mul_u32_u24_e32 v1, 0x124, v0
	v_add_u32_sdwa v32, s2, v1 dst_sel:DWORD dst_unused:UNUSED_PAD src0_sel:DWORD src1_sel:WORD_1
	v_mov_b32_e32 v33, 0
	s_waitcnt lgkmcnt(0)
	v_cmp_gt_u64_e32 vcc, s[8:9], v[32:33]
	s_and_saveexec_b64 s[2:3], vcc
	s_cbranch_execz .LBB0_23
; %bb.1:
	s_load_dwordx2 s[12:13], s[0:1], 0x0
	s_load_dwordx2 s[8:9], s[0:1], 0x38
	s_movk_i32 s2, 0xe1
	v_mul_lo_u16_sdwa v1, v1, s2 dst_sel:DWORD dst_unused:UNUSED_PAD src0_sel:WORD_1 src1_sel:DWORD
	v_sub_u16_e32 v33, v0, v1
	s_movk_i32 s2, 0x87
	v_cmp_gt_u16_e64 s[2:3], s2, v33
	v_lshlrev_b32_e32 v34, 3, v33
	s_and_saveexec_b64 s[14:15], s[2:3]
	s_cbranch_execz .LBB0_3
; %bb.2:
	s_load_dwordx2 s[4:5], s[0:1], 0x18
	v_mov_b32_e32 v0, s10
	v_mov_b32_e32 v1, s11
	;; [unrolled: 1-line block ×4, first 2 shown]
	s_waitcnt lgkmcnt(0)
	s_load_dwordx4 s[4:7], s[4:5], 0x0
	s_waitcnt lgkmcnt(0)
	v_mad_u64_u32 v[2:3], s[10:11], s6, v32, 0
	v_mad_u64_u32 v[4:5], s[10:11], s4, v33, 0
	v_mov_b32_e32 v6, v3
	v_mov_b32_e32 v8, v5
	v_mad_u64_u32 v[6:7], s[6:7], s7, v32, v[6:7]
	v_mov_b32_e32 v3, v6
	v_mad_u64_u32 v[6:7], s[6:7], s5, v33, v[8:9]
	v_mov_b32_e32 v5, v6
	v_lshl_add_u64 v[0:1], v[2:3], 3, v[0:1]
	v_lshl_add_u64 v[0:1], v[4:5], 3, v[0:1]
	global_load_dwordx2 v[2:3], v[0:1], off
	v_mad_u64_u32 v[0:1], s[6:7], s4, v22, v[0:1]
	s_mul_i32 s10, s5, 0x438
	v_add_u32_e32 v1, s10, v1
	v_mad_u64_u32 v[6:7], s[6:7], s4, v22, v[0:1]
	v_add_u32_e32 v7, s10, v7
	global_load_dwordx2 v[8:9], v34, s[12:13]
	global_load_dwordx2 v[10:11], v34, s[12:13] offset:1080
	global_load_dwordx2 v[12:13], v34, s[12:13] offset:2160
	v_lshl_add_u64 v[4:5], s[12:13], 0, v[34:35]
	global_load_dwordx2 v[0:1], v[0:1], off
	v_mad_u64_u32 v[14:15], s[6:7], s4, v22, v[6:7]
	v_add_u32_e32 v15, s10, v15
	global_load_dwordx2 v[16:17], v[6:7], off
	global_load_dwordx2 v[18:19], v[14:15], off
	global_load_dwordx2 v[20:21], v34, s[12:13] offset:3240
	v_add_co_u32_e32 v4, vcc, 0x1000, v4
	v_mad_u64_u32 v[6:7], s[4:5], s4, v22, v[14:15]
	s_nop 0
	v_addc_co_u32_e32 v5, vcc, 0, v5, vcc
	v_add_u32_e32 v7, s10, v7
	global_load_dwordx2 v[14:15], v[4:5], off offset:224
	global_load_dwordx2 v[22:23], v[6:7], off
	v_add_u32_e32 v6, 0x800, v34
	s_waitcnt vmcnt(8)
	v_mul_f32_e32 v4, v3, v9
	v_mul_f32_e32 v5, v2, v9
	v_fmac_f32_e32 v4, v2, v8
	v_fma_f32 v5, v3, v8, -v5
	s_waitcnt vmcnt(5)
	v_mul_f32_e32 v2, v1, v11
	v_mul_f32_e32 v3, v0, v11
	v_fmac_f32_e32 v2, v0, v10
	v_fma_f32 v3, v1, v10, -v3
	ds_write2_b64 v34, v[4:5], v[2:3] offset1:135
	s_waitcnt vmcnt(4)
	v_mul_f32_e32 v0, v17, v13
	v_mul_f32_e32 v1, v16, v13
	s_waitcnt vmcnt(2)
	v_mul_f32_e32 v2, v19, v21
	v_mul_f32_e32 v3, v18, v21
	v_fmac_f32_e32 v0, v16, v12
	v_fma_f32 v1, v17, v12, -v1
	v_fmac_f32_e32 v2, v18, v20
	v_fma_f32 v3, v19, v20, -v3
	ds_write2_b64 v6, v[0:1], v[2:3] offset0:14 offset1:149
	s_waitcnt vmcnt(0)
	v_mul_f32_e32 v0, v23, v15
	v_mul_f32_e32 v1, v22, v15
	v_fmac_f32_e32 v0, v22, v14
	v_fma_f32 v1, v23, v14, -v1
	ds_write_b64 v34, v[0:1] offset:4320
.LBB0_3:
	s_or_b64 exec, exec, s[14:15]
	s_waitcnt lgkmcnt(0)
	s_barrier
	s_waitcnt lgkmcnt(0)
                                        ; implicit-def: $vgpr0
                                        ; implicit-def: $vgpr4
                                        ; implicit-def: $vgpr12
	s_and_saveexec_b64 s[4:5], s[2:3]
	s_cbranch_execz .LBB0_5
; %bb.4:
	v_add_u32_e32 v4, 0x800, v34
	ds_read2_b64 v[0:3], v34 offset1:135
	ds_read2_b64 v[4:7], v4 offset0:14 offset1:149
	ds_read_b64 v[12:13], v34 offset:4320
.LBB0_5:
	s_or_b64 exec, exec, s[4:5]
	s_waitcnt lgkmcnt(1)
	v_pk_add_f32 v[10:11], v[4:5], v[6:7]
	s_waitcnt lgkmcnt(0)
	v_pk_add_f32 v[14:15], v[2:3], v[12:13] neg_lo:[0,1] neg_hi:[0,1]
	s_mov_b32 s4, 0x3f737871
	v_pk_fma_f32 v[10:11], v[10:11], 0.5, v[0:1] op_sel_hi:[1,0,1] neg_lo:[1,0,0] neg_hi:[1,0,0]
	v_pk_mul_f32 v[16:17], v[14:15], s[4:5] op_sel_hi:[1,0]
	v_pk_add_f32 v[20:21], v[4:5], v[6:7] neg_lo:[0,1] neg_hi:[0,1]
	s_mov_b32 s6, 0x3f167918
	v_pk_add_f32 v[18:19], v[10:11], v[16:17] op_sel:[0,1] op_sel_hi:[1,0]
	v_pk_add_f32 v[10:11], v[10:11], v[16:17] op_sel:[0,1] op_sel_hi:[1,0] neg_lo:[0,1] neg_hi:[0,1]
	v_pk_mul_f32 v[16:17], v[20:21], s[6:7] op_sel_hi:[1,0]
	v_pk_add_f32 v[24:25], v[12:13], v[6:7] neg_lo:[0,1] neg_hi:[0,1]
	v_pk_add_f32 v[22:23], v[10:11], v[16:17] op_sel:[0,1] op_sel_hi:[1,0] neg_lo:[0,1] neg_hi:[0,1]
	v_pk_add_f32 v[16:17], v[18:19], v[16:17] op_sel:[0,1] op_sel_hi:[1,0]
	v_pk_add_f32 v[18:19], v[2:3], v[4:5] neg_lo:[0,1] neg_hi:[0,1]
	v_mov_b32_e32 v10, v16
	v_mov_b32_e32 v11, v23
	v_pk_add_f32 v[18:19], v[18:19], v[24:25]
	s_mov_b32 s14, 0x3e9e377a
	v_mov_b32_e32 v23, v17
	v_pk_fma_f32 v[10:11], v[18:19], s[14:15], v[10:11] op_sel_hi:[1,0,1]
	v_pk_fma_f32 v[16:17], v[18:19], s[14:15], v[22:23] op_sel_hi:[1,0,1]
	v_pk_add_f32 v[18:19], v[2:3], v[12:13]
	s_load_dwordx2 s[10:11], s[0:1], 0x8
	v_pk_add_f32 v[8:9], v[0:1], v[2:3]
	v_pk_fma_f32 v[0:1], v[18:19], 0.5, v[0:1] op_sel_hi:[1,0,1] neg_lo:[1,0,0] neg_hi:[1,0,0]
	v_pk_mul_f32 v[18:19], v[20:21], s[4:5] op_sel_hi:[1,0]
	v_pk_mul_f32 v[14:15], v[14:15], s[6:7] op_sel_hi:[1,0]
	v_pk_add_f32 v[20:21], v[0:1], v[18:19] op_sel:[0,1] op_sel_hi:[1,0] neg_lo:[0,1] neg_hi:[0,1]
	v_pk_add_f32 v[0:1], v[0:1], v[18:19] op_sel:[0,1] op_sel_hi:[1,0]
	v_pk_add_f32 v[8:9], v[8:9], v[4:5]
	v_pk_add_f32 v[0:1], v[0:1], v[14:15] op_sel:[0,1] op_sel_hi:[1,0] neg_lo:[0,1] neg_hi:[0,1]
	v_pk_add_f32 v[14:15], v[20:21], v[14:15] op_sel:[0,1] op_sel_hi:[1,0]
	v_pk_add_f32 v[2:3], v[4:5], v[2:3] neg_lo:[0,1] neg_hi:[0,1]
	v_pk_add_f32 v[4:5], v[6:7], v[12:13] neg_lo:[0,1] neg_hi:[0,1]
	v_pk_add_f32 v[8:9], v[8:9], v[6:7]
	v_mov_b32_e32 v18, v14
	v_mov_b32_e32 v19, v1
	v_pk_add_f32 v[2:3], v[2:3], v[4:5]
	v_mov_b32_e32 v1, v15
	v_pk_add_f32 v[8:9], v[8:9], v[12:13]
	v_pk_fma_f32 v[12:13], v[2:3], s[14:15], v[18:19] op_sel_hi:[1,0,1]
	v_pk_fma_f32 v[14:15], v[2:3], s[14:15], v[0:1] op_sel_hi:[1,0,1]
	v_mul_lo_u16_e32 v42, 5, v33
	s_waitcnt lgkmcnt(0)
	s_barrier
	s_and_saveexec_b64 s[4:5], s[2:3]
	s_cbranch_execz .LBB0_7
; %bb.6:
	v_lshlrev_b32_e32 v0, 3, v42
	ds_write2_b64 v0, v[8:9], v[10:11] offset1:1
	ds_write2_b64 v0, v[12:13], v[14:15] offset0:2 offset1:3
	ds_write_b64 v0, v[16:17] offset:32
.LBB0_7:
	s_or_b64 exec, exec, s[4:5]
	s_load_dwordx2 s[0:1], s[0:1], 0x20
	s_waitcnt lgkmcnt(0)
	s_barrier
	s_and_saveexec_b64 s[4:5], s[2:3]
	s_cbranch_execz .LBB0_9
; %bb.8:
	v_add_u32_e32 v0, 0x800, v34
	ds_read2_b64 v[8:11], v34 offset1:135
	ds_read2_b64 v[12:15], v0 offset0:14 offset1:149
	ds_read_b64 v[16:17], v34 offset:4320
.LBB0_9:
	s_or_b64 exec, exec, s[4:5]
	s_movk_i32 s4, 0xcd
	v_mul_lo_u16_sdwa v0, v33, s4 dst_sel:DWORD dst_unused:UNUSED_PAD src0_sel:BYTE_0 src1_sel:DWORD
	v_lshrrev_b16_e32 v35, 10, v0
	v_mul_lo_u16_e32 v0, 5, v35
	v_sub_u16_e32 v0, v33, v0
	v_and_b32_e32 v46, 0xff, v0
	v_lshlrev_b32_e32 v18, 5, v46
	global_load_dwordx4 v[4:7], v18, s[10:11]
	global_load_dwordx4 v[0:3], v18, s[10:11] offset:16
	s_mov_b32 s14, 0x3f737871
	s_mov_b32 s4, 0x3f167918
	;; [unrolled: 1-line block ×3, first 2 shown]
	s_waitcnt lgkmcnt(0)
	s_barrier
	s_waitcnt vmcnt(1)
	v_pk_mul_f32 v[20:21], v[10:11], v[4:5] op_sel:[1,0]
	v_pk_mul_f32 v[22:23], v[12:13], v[6:7] op_sel:[1,0]
	s_waitcnt vmcnt(0)
	v_pk_mul_f32 v[24:25], v[14:15], v[0:1] op_sel:[1,0]
	v_pk_mul_f32 v[26:27], v[16:17], v[2:3] op_sel:[1,0]
	v_pk_fma_f32 v[18:19], v[10:11], v[4:5], v[20:21] op_sel:[0,0,1] op_sel_hi:[1,1,0] neg_lo:[0,0,1] neg_hi:[0,0,1]
	v_pk_fma_f32 v[20:21], v[10:11], v[4:5], v[20:21] op_sel:[0,0,1] op_sel_hi:[0,1,0]
	v_pk_fma_f32 v[10:11], v[12:13], v[6:7], v[22:23] op_sel:[0,0,1] op_sel_hi:[1,1,0] neg_lo:[0,0,1] neg_hi:[0,0,1]
	v_pk_fma_f32 v[22:23], v[12:13], v[6:7], v[22:23] op_sel:[0,0,1] op_sel_hi:[0,1,0]
	;; [unrolled: 2-line block ×4, first 2 shown]
	v_mov_b32_e32 v19, v21
	v_mov_b32_e32 v11, v23
	;; [unrolled: 1-line block ×8, first 2 shown]
	v_pk_add_f32 v[24:25], v[10:11], v[12:13]
	v_pk_add_f32 v[28:29], v[16:17], v[22:23] neg_lo:[0,1] neg_hi:[0,1]
	v_pk_add_f32 v[16:17], v[18:19], v[10:11] neg_lo:[0,1] neg_hi:[0,1]
	;; [unrolled: 1-line block ×3, first 2 shown]
	v_pk_add_f32 v[26:27], v[18:19], v[14:15]
	v_pk_add_f32 v[20:21], v[18:19], v[14:15] neg_lo:[0,1] neg_hi:[0,1]
	v_pk_add_f32 v[30:31], v[10:11], v[18:19] neg_lo:[0,1] neg_hi:[0,1]
	;; [unrolled: 1-line block ×3, first 2 shown]
	v_pk_fma_f32 v[24:25], v[24:25], 0.5, v[8:9] op_sel_hi:[1,0,1] neg_lo:[1,0,0] neg_hi:[1,0,0]
	v_pk_add_f32 v[38:39], v[16:17], v[22:23]
	v_pk_fma_f32 v[22:23], v[26:27], 0.5, v[8:9] op_sel_hi:[1,0,1] neg_lo:[1,0,0] neg_hi:[1,0,0]
	v_pk_add_f32 v[40:41], v[30:31], v[36:37]
	v_pk_fma_f32 v[26:27], v[20:21], s[14:15], v[24:25] op_sel:[1,0,0] op_sel_hi:[0,0,1] neg_lo:[1,0,0] neg_hi:[1,0,0]
	v_pk_fma_f32 v[30:31], v[20:21], s[14:15], v[24:25] op_sel:[1,0,0] op_sel_hi:[0,0,1]
	v_pk_fma_f32 v[16:17], v[28:29], s[14:15], v[22:23] op_sel_hi:[1,0,1]
	v_pk_fma_f32 v[24:25], v[28:29], s[14:15], v[22:23] op_sel_hi:[1,0,1] neg_lo:[1,0,0] neg_hi:[1,0,0]
	v_pk_fma_f32 v[22:23], v[28:29], s[4:5], v[26:27] op_sel_hi:[1,0,1] neg_lo:[1,0,0] neg_hi:[1,0,0]
	v_pk_fma_f32 v[36:37], v[28:29], s[4:5], v[30:31] op_sel_hi:[1,0,1]
	v_pk_fma_f32 v[44:45], v[20:21], s[4:5], v[16:17] op_sel:[1,0,0] op_sel_hi:[0,0,1] neg_lo:[1,0,0] neg_hi:[1,0,0]
	v_pk_fma_f32 v[48:49], v[20:21], s[4:5], v[24:25] op_sel:[1,0,0] op_sel_hi:[0,0,1]
	v_mov_b32_e32 v23, v37
	v_mov_b32_e32 v45, v49
	v_pk_fma_f32 v[36:37], v[38:39], s[6:7], v[22:23] op_sel_hi:[1,0,1]
	v_pk_fma_f32 v[22:23], v[40:41], s[6:7], v[44:45] op_sel_hi:[1,0,1]
	v_mul_u32_u24_e32 v48, 25, v35
	s_and_saveexec_b64 s[14:15], s[2:3]
	s_cbranch_execz .LBB0_11
; %bb.10:
	v_pk_add_f32 v[8:9], v[8:9], v[18:19]
	v_pk_mul_f32 v[28:29], v[28:29], s[4:5] op_sel_hi:[1,0]
	v_pk_add_f32 v[8:9], v[8:9], v[10:11]
	v_pk_add_f32 v[10:11], v[30:31], v[28:29]
	;; [unrolled: 1-line block ×3, first 2 shown]
	v_pk_add_f32 v[12:13], v[26:27], v[28:29] neg_lo:[0,1] neg_hi:[0,1]
	v_pk_mul_f32 v[38:39], v[38:39], s[6:7] op_sel_hi:[1,0]
	v_mov_b32_e32 v11, v13
	v_pk_mul_f32 v[20:21], v[20:21], s[4:5] op_sel:[1,0] op_sel_hi:[0,0]
	v_add_lshl_u32 v18, v48, v46, 3
	v_pk_add_f32 v[8:9], v[8:9], v[14:15]
	v_pk_add_f32 v[10:11], v[38:39], v[10:11]
	ds_write2_b64 v18, v[8:9], v[10:11] offset1:5
	v_pk_add_f32 v[8:9], v[24:25], v[20:21]
	v_pk_add_f32 v[10:11], v[16:17], v[20:21] neg_lo:[0,1] neg_hi:[0,1]
	v_pk_mul_f32 v[40:41], v[40:41], s[6:7] op_sel_hi:[1,0]
	v_mov_b32_e32 v9, v11
	v_pk_add_f32 v[8:9], v[40:41], v[8:9]
	ds_write2_b64 v18, v[8:9], v[22:23] offset0:10 offset1:15
	ds_write_b64 v18, v[36:37] offset:160
.LBB0_11:
	s_or_b64 exec, exec, s[14:15]
	v_mov_b32_e32 v8, 41
	v_mul_lo_u16_sdwa v8, v33, v8 dst_sel:DWORD dst_unused:UNUSED_PAD src0_sel:BYTE_0 src1_sel:DWORD
	v_lshrrev_b16_e32 v18, 10, v8
	v_mul_lo_u16_e32 v8, 25, v18
	v_sub_u16_e32 v8, v33, v8
	v_and_b32_e32 v19, 0xff, v8
	v_lshlrev_b32_e32 v8, 4, v19
	s_load_dwordx4 s[4:7], s[0:1], 0x0
	s_waitcnt lgkmcnt(0)
	s_barrier
	global_load_dwordx4 v[8:11], v8, s[10:11] offset:160
	s_movk_i32 s1, 0xdb
	ds_read2_b64 v[12:15], v34 offset1:225
	ds_read_b64 v[16:17], v34 offset:3600
	v_mul_lo_u16_sdwa v20, v33, s1 dst_sel:DWORD dst_unused:UNUSED_PAD src0_sel:BYTE_0 src1_sel:DWORD
	v_lshrrev_b16_e32 v21, 14, v20
	v_mul_lo_u16_e32 v20, 0x4b, v21
	v_mul_u32_u24_e32 v18, 0x4b, v18
	v_sub_u16_e32 v20, v33, v20
	v_and_b32_e32 v26, 0xff, v20
	v_add_lshl_u32 v47, v18, v19, 3
	s_mov_b32 s0, 0x3f5db3d7
	v_lshlrev_b32_e32 v27, 4, v26
	s_waitcnt lgkmcnt(0)
	s_barrier
	s_waitcnt vmcnt(0)
	v_pk_mul_f32 v[18:19], v[14:15], v[8:9] op_sel:[0,1]
	v_mov_b32_e32 v20, v11
	v_pk_fma_f32 v[24:25], v[14:15], v[8:9], v[18:19] op_sel:[0,0,1] op_sel_hi:[1,1,0] neg_lo:[0,0,1] neg_hi:[0,0,1]
	v_pk_fma_f32 v[14:15], v[14:15], v[8:9], v[18:19] op_sel:[0,0,1] op_sel_hi:[1,0,0]
	v_pk_mul_f32 v[18:19], v[16:17], v[20:21] op_sel_hi:[1,0]
	v_mov_b32_e32 v25, v15
	v_pk_fma_f32 v[14:15], v[16:17], v[10:11], v[18:19] op_sel:[0,0,1] op_sel_hi:[1,1,0] neg_lo:[0,0,1] neg_hi:[0,0,1]
	v_pk_fma_f32 v[16:17], v[16:17], v[10:11], v[18:19] op_sel:[0,0,1] op_sel_hi:[1,0,0]
	s_nop 0
	v_mov_b32_e32 v15, v17
	v_pk_add_f32 v[16:17], v[12:13], v[24:25]
	v_pk_add_f32 v[18:19], v[24:25], v[14:15]
	;; [unrolled: 1-line block ×3, first 2 shown]
	v_pk_add_f32 v[14:15], v[24:25], v[14:15] neg_lo:[0,1] neg_hi:[0,1]
	v_pk_fma_f32 v[12:13], v[18:19], 0.5, v[12:13] op_sel_hi:[1,0,1] neg_lo:[1,0,0] neg_hi:[1,0,0]
	v_pk_mul_f32 v[14:15], v[14:15], s[0:1] op_sel_hi:[1,0]
	s_nop 0
	v_pk_add_f32 v[18:19], v[12:13], v[14:15] op_sel:[0,1] op_sel_hi:[1,0]
	v_pk_add_f32 v[12:13], v[12:13], v[14:15] op_sel:[0,1] op_sel_hi:[1,0] neg_lo:[0,1] neg_hi:[0,1]
	v_mov_b32_e32 v14, v18
	v_mov_b32_e32 v15, v13
	;; [unrolled: 1-line block ×3, first 2 shown]
	ds_write2_b64 v47, v[16:17], v[14:15] offset1:25
	ds_write_b64 v47, v[12:13] offset:400
	s_waitcnt lgkmcnt(0)
	s_barrier
	global_load_dwordx4 v[12:15], v27, s[10:11] offset:560
	v_mul_u32_u24_e32 v16, 0xe1, v21
	v_add_lshl_u32 v49, v16, v26, 3
	ds_read2_b64 v[16:19], v34 offset1:225
	ds_read_b64 v[20:21], v34 offset:3600
	v_lshlrev_b32_e32 v27, 4, v33
	s_waitcnt lgkmcnt(0)
	s_barrier
	s_waitcnt vmcnt(0)
	v_pk_mul_f32 v[24:25], v[18:19], v[12:13] op_sel:[0,1]
	v_mov_b32_e32 v26, v15
	v_pk_fma_f32 v[28:29], v[18:19], v[12:13], v[24:25] op_sel:[0,0,1] op_sel_hi:[1,1,0] neg_lo:[0,0,1] neg_hi:[0,0,1]
	v_pk_fma_f32 v[18:19], v[18:19], v[12:13], v[24:25] op_sel:[0,0,1] op_sel_hi:[1,0,0]
	v_pk_mul_f32 v[24:25], v[20:21], v[26:27] op_sel_hi:[1,0]
	v_mov_b32_e32 v29, v19
	v_pk_fma_f32 v[18:19], v[20:21], v[14:15], v[24:25] op_sel:[0,0,1] op_sel_hi:[1,1,0] neg_lo:[0,0,1] neg_hi:[0,0,1]
	v_pk_fma_f32 v[20:21], v[20:21], v[14:15], v[24:25] op_sel:[0,0,1] op_sel_hi:[1,0,0]
	s_nop 0
	v_mov_b32_e32 v19, v21
	v_pk_add_f32 v[20:21], v[16:17], v[28:29]
	v_pk_add_f32 v[24:25], v[28:29], v[18:19]
	;; [unrolled: 1-line block ×3, first 2 shown]
	v_pk_add_f32 v[18:19], v[28:29], v[18:19] neg_lo:[0,1] neg_hi:[0,1]
	v_pk_fma_f32 v[16:17], v[24:25], 0.5, v[16:17] op_sel_hi:[1,0,1] neg_lo:[1,0,0] neg_hi:[1,0,0]
	v_pk_mul_f32 v[18:19], v[18:19], s[0:1] op_sel_hi:[1,0]
	s_nop 0
	v_pk_add_f32 v[24:25], v[16:17], v[18:19] op_sel:[0,1] op_sel_hi:[1,0]
	v_pk_add_f32 v[16:17], v[16:17], v[18:19] op_sel:[0,1] op_sel_hi:[1,0] neg_lo:[0,1] neg_hi:[0,1]
	v_mov_b32_e32 v18, v24
	v_mov_b32_e32 v19, v17
	;; [unrolled: 1-line block ×3, first 2 shown]
	ds_write2_b64 v49, v[20:21], v[18:19] offset1:75
	ds_write_b64 v49, v[16:17] offset:1200
	s_waitcnt lgkmcnt(0)
	s_barrier
	global_load_dwordx4 v[16:19], v27, s[10:11] offset:1760
	ds_read2_b64 v[26:29], v34 offset1:225
	ds_read_b64 v[20:21], v34 offset:3600
	s_waitcnt vmcnt(0) lgkmcnt(1)
	v_pk_mul_f32 v[24:25], v[28:29], v[16:17] op_sel:[0,1]
	v_mov_b32_e32 v30, v19
	v_pk_fma_f32 v[38:39], v[28:29], v[16:17], v[24:25] op_sel:[0,0,1] op_sel_hi:[1,1,0] neg_lo:[0,0,1] neg_hi:[0,0,1]
	v_pk_fma_f32 v[24:25], v[28:29], v[16:17], v[24:25] op_sel:[0,0,1] op_sel_hi:[1,0,0]
	s_waitcnt lgkmcnt(0)
	v_pk_mul_f32 v[28:29], v[20:21], v[30:31] op_sel_hi:[1,0]
	v_mov_b32_e32 v39, v25
	v_pk_fma_f32 v[24:25], v[20:21], v[18:19], v[28:29] op_sel:[0,0,1] op_sel_hi:[1,1,0] neg_lo:[0,0,1] neg_hi:[0,0,1]
	v_pk_fma_f32 v[20:21], v[20:21], v[18:19], v[28:29] op_sel:[0,0,1] op_sel_hi:[1,0,0]
	v_pk_add_f32 v[28:29], v[26:27], v[38:39]
	v_mov_b32_e32 v25, v21
	v_pk_add_f32 v[30:31], v[38:39], v[24:25]
	v_pk_add_f32 v[20:21], v[38:39], v[24:25] neg_lo:[0,1] neg_hi:[0,1]
	v_pk_fma_f32 v[26:27], v[30:31], 0.5, v[26:27] op_sel_hi:[1,0,1] neg_lo:[1,0,0] neg_hi:[1,0,0]
	v_pk_add_f32 v[24:25], v[28:29], v[24:25]
	v_pk_fma_f32 v[28:29], v[20:21], s[0:1], v[26:27] op_sel:[1,0,0] op_sel_hi:[0,0,1] neg_lo:[1,0,0] neg_hi:[1,0,0]
	v_pk_fma_f32 v[26:27], v[20:21], s[0:1], v[26:27] op_sel:[1,0,0] op_sel_hi:[0,0,1]
	v_mov_b32_e32 v20, v28
	v_mov_b32_e32 v21, v27
	;; [unrolled: 1-line block ×3, first 2 shown]
	ds_write2_b64 v34, v[24:25], v[26:27] offset1:225
	ds_write_b64 v34, v[20:21] offset:3600
	s_waitcnt lgkmcnt(0)
	s_barrier
	s_and_saveexec_b64 s[0:1], s[2:3]
	s_cbranch_execz .LBB0_13
; %bb.12:
	v_mov_b32_e32 v35, 0
	v_lshl_add_u64 v[28:29], s[12:13], 0, v[34:35]
	v_add_co_u32_e32 v30, vcc, 0x1000, v28
	s_mov_b64 s[10:11], 0x1518
	s_nop 0
	v_addc_co_u32_e32 v31, vcc, 0, v29, vcc
	global_load_dwordx2 v[30:31], v[30:31], off offset:1304
	v_lshl_add_u64 v[38:39], v[28:29], 0, s[10:11]
	v_add_co_u32_e32 v28, vcc, 0x2000, v28
	global_load_dwordx2 v[44:45], v[38:39], off offset:1080
	global_load_dwordx2 v[50:51], v[38:39], off offset:2160
	v_addc_co_u32_e32 v29, vcc, 0, v29, vcc
	global_load_dwordx2 v[52:53], v[38:39], off offset:3240
	global_load_dwordx2 v[54:55], v[28:29], off offset:1528
	ds_read_b64 v[28:29], v34
	v_add_u32_e32 v35, 0x400, v34
	v_add_u32_e32 v43, 0xc00, v34
	s_waitcnt vmcnt(4) lgkmcnt(0)
	v_mul_f32_e32 v38, v29, v31
	v_mul_f32_e32 v39, v28, v31
	v_fma_f32 v38, v28, v30, -v38
	v_fmac_f32_e32 v39, v29, v30
	ds_write_b64 v34, v[38:39]
	ds_read2_b64 v[28:31], v35 offset0:7 offset1:142
	ds_read2_b64 v[38:41], v43 offset0:21 offset1:156
	s_waitcnt vmcnt(3) lgkmcnt(1)
	v_mul_f32_e32 v56, v29, v45
	v_mul_f32_e32 v57, v28, v45
	s_waitcnt vmcnt(2)
	v_mul_f32_e32 v58, v31, v51
	v_mul_f32_e32 v45, v30, v51
	s_waitcnt vmcnt(1) lgkmcnt(0)
	v_mul_f32_e32 v59, v39, v53
	v_mul_f32_e32 v51, v38, v53
	s_waitcnt vmcnt(0)
	v_mul_f32_e32 v60, v41, v55
	v_mul_f32_e32 v53, v40, v55
	v_fma_f32 v56, v28, v44, -v56
	v_fmac_f32_e32 v57, v29, v44
	v_fma_f32 v44, v30, v50, -v58
	v_fmac_f32_e32 v45, v31, v50
	;; [unrolled: 2-line block ×4, first 2 shown]
	ds_write2_b64 v35, v[56:57], v[44:45] offset0:7 offset1:142
	ds_write2_b64 v43, v[50:51], v[52:53] offset0:21 offset1:156
.LBB0_13:
	s_or_b64 exec, exec, s[0:1]
	s_waitcnt lgkmcnt(0)
	s_barrier
	s_and_saveexec_b64 s[0:1], s[2:3]
	s_cbranch_execz .LBB0_15
; %bb.14:
	v_add_u32_e32 v20, 0x800, v34
	ds_read2_b64 v[24:27], v34 offset1:135
	ds_read2_b64 v[20:23], v20 offset0:14 offset1:149
	ds_read_b64 v[36:37], v34 offset:4320
.LBB0_15:
	s_or_b64 exec, exec, s[0:1]
	s_waitcnt lgkmcnt(1)
	v_pk_add_f32 v[30:31], v[20:21], v[22:23]
	s_waitcnt lgkmcnt(0)
	v_pk_add_f32 v[38:39], v[26:27], v[36:37] neg_lo:[0,1] neg_hi:[0,1]
	s_mov_b32 s0, 0x3f737871
	v_pk_fma_f32 v[30:31], v[30:31], 0.5, v[24:25] op_sel_hi:[1,0,1] neg_lo:[1,0,0] neg_hi:[1,0,0]
	v_pk_mul_f32 v[40:41], v[38:39], s[0:1] op_sel_hi:[1,0]
	v_pk_add_f32 v[50:51], v[20:21], v[22:23] neg_lo:[0,1] neg_hi:[0,1]
	s_mov_b32 s10, 0x3f167918
	v_pk_add_f32 v[44:45], v[30:31], v[40:41] op_sel:[0,1] op_sel_hi:[1,0] neg_lo:[0,1] neg_hi:[0,1]
	v_pk_add_f32 v[30:31], v[30:31], v[40:41] op_sel:[0,1] op_sel_hi:[1,0]
	v_pk_mul_f32 v[40:41], v[50:51], s[10:11] op_sel_hi:[1,0]
	v_pk_add_f32 v[54:55], v[36:37], v[22:23] neg_lo:[0,1] neg_hi:[0,1]
	v_pk_add_f32 v[52:53], v[30:31], v[40:41] op_sel:[0,1] op_sel_hi:[1,0]
	v_pk_add_f32 v[40:41], v[44:45], v[40:41] op_sel:[0,1] op_sel_hi:[1,0] neg_lo:[0,1] neg_hi:[0,1]
	v_pk_add_f32 v[44:45], v[26:27], v[20:21] neg_lo:[0,1] neg_hi:[0,1]
	v_mov_b32_e32 v30, v40
	v_mov_b32_e32 v31, v53
	v_pk_add_f32 v[44:45], v[44:45], v[54:55]
	s_mov_b32 s14, 0x3e9e377a
	v_mov_b32_e32 v53, v41
	v_pk_fma_f32 v[30:31], v[44:45], s[14:15], v[30:31] op_sel_hi:[1,0,1]
	v_pk_fma_f32 v[40:41], v[44:45], s[14:15], v[52:53] op_sel_hi:[1,0,1]
	v_pk_add_f32 v[44:45], v[26:27], v[36:37]
	v_pk_add_f32 v[28:29], v[24:25], v[26:27]
	v_pk_fma_f32 v[24:25], v[44:45], 0.5, v[24:25] op_sel_hi:[1,0,1] neg_lo:[1,0,0] neg_hi:[1,0,0]
	v_pk_mul_f32 v[44:45], v[50:51], s[0:1] op_sel_hi:[1,0]
	v_pk_add_f32 v[28:29], v[28:29], v[20:21]
	v_pk_add_f32 v[50:51], v[24:25], v[44:45] op_sel:[0,1] op_sel_hi:[1,0]
	v_pk_add_f32 v[24:25], v[24:25], v[44:45] op_sel:[0,1] op_sel_hi:[1,0] neg_lo:[0,1] neg_hi:[0,1]
	v_pk_mul_f32 v[38:39], v[38:39], s[10:11] op_sel_hi:[1,0]
	v_pk_add_f32 v[28:29], v[28:29], v[22:23]
	v_pk_add_f32 v[24:25], v[24:25], v[38:39] op_sel:[0,1] op_sel_hi:[1,0]
	v_pk_add_f32 v[38:39], v[50:51], v[38:39] op_sel:[0,1] op_sel_hi:[1,0] neg_lo:[0,1] neg_hi:[0,1]
	v_pk_add_f32 v[20:21], v[20:21], v[26:27] neg_lo:[0,1] neg_hi:[0,1]
	v_pk_add_f32 v[22:23], v[22:23], v[36:37] neg_lo:[0,1] neg_hi:[0,1]
	v_mov_b32_e32 v44, v38
	v_mov_b32_e32 v45, v25
	v_pk_add_f32 v[22:23], v[20:21], v[22:23]
	v_mov_b32_e32 v25, v39
	v_pk_add_f32 v[28:29], v[28:29], v[36:37]
	v_pk_fma_f32 v[20:21], v[22:23], s[14:15], v[44:45] op_sel_hi:[1,0,1]
	v_pk_fma_f32 v[22:23], v[22:23], s[14:15], v[24:25] op_sel_hi:[1,0,1]
	s_barrier
	s_and_saveexec_b64 s[0:1], s[2:3]
	s_cbranch_execz .LBB0_17
; %bb.16:
	v_lshlrev_b32_e32 v24, 3, v42
	ds_write2_b64 v24, v[28:29], v[30:31] offset1:1
	ds_write2_b64 v24, v[20:21], v[22:23] offset0:2 offset1:3
	ds_write_b64 v24, v[40:41] offset:32
.LBB0_17:
	s_or_b64 exec, exec, s[0:1]
	s_waitcnt lgkmcnt(0)
	s_barrier
	s_and_saveexec_b64 s[0:1], s[2:3]
	s_cbranch_execz .LBB0_19
; %bb.18:
	v_add_u32_e32 v20, 0x800, v34
	ds_read2_b64 v[28:31], v34 offset1:135
	ds_read2_b64 v[20:23], v20 offset0:14 offset1:149
	ds_read_b64 v[40:41], v34 offset:4320
.LBB0_19:
	s_or_b64 exec, exec, s[0:1]
	v_mov_b32_e32 v44, v8
	v_mov_b32_e32 v45, v8
	;; [unrolled: 1-line block ×18, first 2 shown]
	s_waitcnt lgkmcnt(0)
	s_barrier
	s_and_saveexec_b64 s[0:1], s[2:3]
	s_cbranch_execz .LBB0_21
; %bb.20:
	v_pk_mul_f32 v[50:51], v[6:7], v[20:21] op_sel:[0,1]
	v_pk_mul_f32 v[52:53], v[4:5], v[30:31] op_sel:[0,1]
	v_pk_fma_f32 v[58:59], v[6:7], v[20:21], v[50:51] op_sel:[0,0,1] op_sel_hi:[1,1,0]
	v_pk_fma_f32 v[6:7], v[6:7], v[20:21], v[50:51] op_sel:[0,0,1] op_sel_hi:[1,0,0] neg_lo:[1,0,0] neg_hi:[1,0,0]
	v_pk_mul_f32 v[54:55], v[0:1], v[22:23] op_sel:[0,1]
	v_mov_b32_e32 v59, v7
	v_pk_fma_f32 v[6:7], v[4:5], v[30:31], v[52:53] op_sel:[0,0,1] op_sel_hi:[1,1,0]
	v_pk_fma_f32 v[4:5], v[4:5], v[30:31], v[52:53] op_sel:[0,0,1] op_sel_hi:[1,0,0] neg_lo:[1,0,0] neg_hi:[1,0,0]
	v_pk_mul_f32 v[56:57], v[2:3], v[40:41] op_sel:[0,1]
	v_mov_b32_e32 v7, v5
	v_pk_fma_f32 v[4:5], v[0:1], v[22:23], v[54:55] op_sel:[0,0,1] op_sel_hi:[1,1,0]
	v_pk_fma_f32 v[0:1], v[0:1], v[22:23], v[54:55] op_sel:[0,0,1] op_sel_hi:[1,0,0] neg_lo:[1,0,0] neg_hi:[1,0,0]
	s_mov_b32 s10, 0x3f737871
	v_mov_b32_e32 v5, v1
	v_pk_fma_f32 v[0:1], v[2:3], v[40:41], v[56:57] op_sel:[0,0,1] op_sel_hi:[1,1,0]
	v_pk_fma_f32 v[2:3], v[2:3], v[40:41], v[56:57] op_sel:[0,0,1] op_sel_hi:[1,0,0] neg_lo:[1,0,0] neg_hi:[1,0,0]
	v_pk_add_f32 v[30:31], v[58:59], v[4:5]
	v_mov_b32_e32 v1, v3
	v_pk_add_f32 v[22:23], v[6:7], v[0:1] neg_lo:[0,1] neg_hi:[0,1]
	v_pk_add_f32 v[20:21], v[58:59], v[4:5] neg_lo:[0,1] neg_hi:[0,1]
	v_pk_fma_f32 v[30:31], v[30:31], 0.5, v[28:29] op_sel_hi:[1,0,1] neg_lo:[1,0,0] neg_hi:[1,0,0]
	v_pk_mul_f32 v[40:41], v[22:23], s[10:11] op_sel_hi:[1,0]
	s_mov_b32 s14, 0x3f167918
	v_pk_add_f32 v[52:53], v[6:7], v[58:59] neg_lo:[0,1] neg_hi:[0,1]
	v_pk_add_f32 v[54:55], v[0:1], v[4:5] neg_lo:[0,1] neg_hi:[0,1]
	v_pk_add_f32 v[2:3], v[28:29], v[6:7]
	v_pk_mul_f32 v[50:51], v[20:21], s[14:15] op_sel_hi:[1,0]
	v_pk_add_f32 v[52:53], v[52:53], v[54:55]
	v_pk_add_f32 v[54:55], v[30:31], v[40:41] op_sel:[0,1] op_sel_hi:[1,0] neg_lo:[0,1] neg_hi:[0,1]
	v_pk_add_f32 v[30:31], v[30:31], v[40:41] op_sel:[0,1] op_sel_hi:[1,0]
	v_pk_add_f32 v[2:3], v[2:3], v[58:59]
	v_pk_add_f32 v[30:31], v[30:31], v[50:51] op_sel:[0,1] op_sel_hi:[1,0]
	v_pk_add_f32 v[40:41], v[54:55], v[50:51] op_sel:[0,1] op_sel_hi:[1,0] neg_lo:[0,1] neg_hi:[0,1]
	v_pk_add_f32 v[2:3], v[2:3], v[4:5]
	s_mov_b32 s16, 0x3e9e377a
	v_mov_b32_e32 v50, v40
	v_mov_b32_e32 v51, v31
	v_add_lshl_u32 v35, v48, v46, 3
	v_pk_add_f32 v[2:3], v[2:3], v[0:1]
	v_pk_fma_f32 v[50:51], v[52:53], s[16:17], v[50:51] op_sel_hi:[1,0,1]
	ds_write2_b64 v35, v[2:3], v[50:51] offset1:5
	v_pk_add_f32 v[2:3], v[58:59], v[6:7] neg_lo:[0,1] neg_hi:[0,1]
	v_pk_add_f32 v[4:5], v[4:5], v[0:1] neg_lo:[0,1] neg_hi:[0,1]
	v_pk_add_f32 v[0:1], v[6:7], v[0:1]
	v_pk_add_f32 v[2:3], v[2:3], v[4:5]
	v_pk_fma_f32 v[0:1], v[0:1], 0.5, v[28:29] op_sel_hi:[1,0,1] neg_lo:[1,0,0] neg_hi:[1,0,0]
	v_pk_mul_f32 v[4:5], v[20:21], s[10:11] op_sel_hi:[1,0]
	v_pk_mul_f32 v[6:7], v[22:23], s[14:15] op_sel_hi:[1,0]
	v_pk_add_f32 v[20:21], v[0:1], v[4:5] op_sel:[0,1] op_sel_hi:[1,0]
	v_pk_add_f32 v[0:1], v[0:1], v[4:5] op_sel:[0,1] op_sel_hi:[1,0] neg_lo:[0,1] neg_hi:[0,1]
	v_pk_add_f32 v[4:5], v[20:21], v[6:7] op_sel:[0,1] op_sel_hi:[1,0] neg_lo:[0,1] neg_hi:[0,1]
	v_pk_add_f32 v[0:1], v[0:1], v[6:7] op_sel:[0,1] op_sel_hi:[1,0]
	v_mov_b32_e32 v6, v4
	v_mov_b32_e32 v7, v1
	;; [unrolled: 1-line block ×3, first 2 shown]
	v_pk_fma_f32 v[6:7], v[2:3], s[16:17], v[6:7] op_sel_hi:[1,0,1]
	v_pk_fma_f32 v[0:1], v[2:3], s[16:17], v[0:1] op_sel_hi:[1,0,1]
	v_mov_b32_e32 v31, v41
	ds_write2_b64 v35, v[6:7], v[0:1] offset0:10 offset1:15
	v_pk_fma_f32 v[0:1], v[52:53], s[16:17], v[30:31] op_sel_hi:[1,0,1]
	ds_write_b64 v35, v[0:1] offset:160
.LBB0_21:
	s_or_b64 exec, exec, s[0:1]
	s_waitcnt lgkmcnt(0)
	s_barrier
	ds_read2_b64 v[0:3], v34 offset1:225
	ds_read_b64 v[4:5], v34 offset:3600
	s_mov_b32 s0, 0x3f5db3d7
	s_waitcnt lgkmcnt(0)
	s_barrier
	v_pk_mul_f32 v[6:7], v[8:9], v[2:3]
	s_nop 0
	v_pk_fma_f32 v[8:9], v[44:45], v[2:3], v[6:7] op_sel:[0,0,1] op_sel_hi:[1,1,0]
	v_pk_fma_f32 v[2:3], v[44:45], v[2:3], v[6:7] op_sel:[0,0,1] op_sel_hi:[1,1,0] neg_lo:[0,0,1] neg_hi:[0,0,1]
	s_nop 0
	v_mov_b32_e32 v9, v3
	v_pk_mul_f32 v[2:3], v[10:11], v[4:5]
	s_nop 0
	v_pk_fma_f32 v[6:7], v[42:43], v[4:5], v[2:3] op_sel:[0,0,1] op_sel_hi:[1,1,0]
	v_pk_fma_f32 v[2:3], v[42:43], v[4:5], v[2:3] op_sel:[0,0,1] op_sel_hi:[1,1,0] neg_lo:[0,0,1] neg_hi:[0,0,1]
	s_nop 0
	v_mov_b32_e32 v7, v3
	v_pk_add_f32 v[4:5], v[8:9], v[6:7]
	v_pk_add_f32 v[2:3], v[0:1], v[8:9]
	v_pk_fma_f32 v[0:1], v[4:5], 0.5, v[0:1] op_sel_hi:[1,0,1] neg_lo:[1,0,0] neg_hi:[1,0,0]
	v_pk_add_f32 v[4:5], v[8:9], v[6:7] neg_lo:[0,1] neg_hi:[0,1]
	v_pk_add_f32 v[2:3], v[2:3], v[6:7]
	v_pk_mul_f32 v[4:5], v[4:5], s[0:1] op_sel_hi:[1,0]
	s_nop 0
	v_pk_add_f32 v[6:7], v[0:1], v[4:5] op_sel:[0,1] op_sel_hi:[1,0] neg_lo:[0,1] neg_hi:[0,1]
	v_pk_add_f32 v[0:1], v[0:1], v[4:5] op_sel:[0,1] op_sel_hi:[1,0]
	v_mov_b32_e32 v4, v6
	v_mov_b32_e32 v5, v1
	v_mov_b32_e32 v1, v7
	ds_write2_b64 v47, v[2:3], v[4:5] offset1:25
	ds_write_b64 v47, v[0:1] offset:400
	s_waitcnt lgkmcnt(0)
	s_barrier
	ds_read2_b64 v[0:3], v34 offset1:225
	ds_read_b64 v[4:5], v34 offset:3600
	s_waitcnt lgkmcnt(0)
	s_barrier
	v_pk_mul_f32 v[6:7], v[12:13], v[2:3]
	s_nop 0
	v_pk_fma_f32 v[8:9], v[38:39], v[2:3], v[6:7] op_sel:[0,0,1] op_sel_hi:[1,1,0]
	v_pk_fma_f32 v[2:3], v[38:39], v[2:3], v[6:7] op_sel:[0,0,1] op_sel_hi:[1,1,0] neg_lo:[0,0,1] neg_hi:[0,0,1]
	s_nop 0
	v_mov_b32_e32 v9, v3
	v_pk_mul_f32 v[2:3], v[14:15], v[4:5]
	s_nop 0
	v_pk_fma_f32 v[6:7], v[36:37], v[4:5], v[2:3] op_sel:[0,0,1] op_sel_hi:[1,1,0]
	v_pk_fma_f32 v[2:3], v[36:37], v[4:5], v[2:3] op_sel:[0,0,1] op_sel_hi:[1,1,0] neg_lo:[0,0,1] neg_hi:[0,0,1]
	s_nop 0
	v_mov_b32_e32 v7, v3
	v_pk_add_f32 v[4:5], v[8:9], v[6:7]
	v_pk_add_f32 v[2:3], v[0:1], v[8:9]
	v_pk_fma_f32 v[0:1], v[4:5], 0.5, v[0:1] op_sel_hi:[1,0,1] neg_lo:[1,0,0] neg_hi:[1,0,0]
	v_pk_add_f32 v[4:5], v[8:9], v[6:7] neg_lo:[0,1] neg_hi:[0,1]
	v_pk_add_f32 v[2:3], v[2:3], v[6:7]
	v_pk_mul_f32 v[4:5], v[4:5], s[0:1] op_sel_hi:[1,0]
	s_nop 0
	v_pk_add_f32 v[6:7], v[0:1], v[4:5] op_sel:[0,1] op_sel_hi:[1,0] neg_lo:[0,1] neg_hi:[0,1]
	v_pk_add_f32 v[0:1], v[0:1], v[4:5] op_sel:[0,1] op_sel_hi:[1,0]
	v_mov_b32_e32 v4, v6
	v_mov_b32_e32 v5, v1
	;; [unrolled: 1-line block ×3, first 2 shown]
	ds_write2_b64 v49, v[2:3], v[4:5] offset1:75
	ds_write_b64 v49, v[0:1] offset:1200
	s_waitcnt lgkmcnt(0)
	s_barrier
	ds_read2_b64 v[0:3], v34 offset1:225
	ds_read_b64 v[4:5], v34 offset:3600
	s_waitcnt lgkmcnt(1)
	v_pk_mul_f32 v[6:7], v[16:17], v[2:3]
	s_nop 0
	v_pk_fma_f32 v[8:9], v[26:27], v[2:3], v[6:7] op_sel:[0,0,1] op_sel_hi:[1,1,0]
	v_pk_fma_f32 v[2:3], v[26:27], v[2:3], v[6:7] op_sel:[0,0,1] op_sel_hi:[1,1,0] neg_lo:[0,0,1] neg_hi:[0,0,1]
	s_nop 0
	v_mov_b32_e32 v9, v3
	s_waitcnt lgkmcnt(0)
	v_pk_mul_f32 v[2:3], v[18:19], v[4:5]
	s_nop 0
	v_pk_fma_f32 v[6:7], v[24:25], v[4:5], v[2:3] op_sel:[0,0,1] op_sel_hi:[1,1,0]
	v_pk_fma_f32 v[2:3], v[24:25], v[4:5], v[2:3] op_sel:[0,0,1] op_sel_hi:[1,1,0] neg_lo:[0,0,1] neg_hi:[0,0,1]
	s_nop 0
	v_mov_b32_e32 v7, v3
	v_pk_add_f32 v[4:5], v[8:9], v[6:7]
	v_pk_add_f32 v[2:3], v[0:1], v[8:9]
	v_pk_fma_f32 v[0:1], v[4:5], 0.5, v[0:1] op_sel_hi:[1,0,1] neg_lo:[1,0,0] neg_hi:[1,0,0]
	v_pk_add_f32 v[4:5], v[8:9], v[6:7] neg_lo:[0,1] neg_hi:[0,1]
	v_pk_add_f32 v[2:3], v[2:3], v[6:7]
	v_pk_mul_f32 v[4:5], v[4:5], s[0:1] op_sel_hi:[1,0]
	s_nop 0
	v_pk_add_f32 v[6:7], v[0:1], v[4:5] op_sel:[0,1] op_sel_hi:[1,0] neg_lo:[0,1] neg_hi:[0,1]
	v_pk_add_f32 v[0:1], v[0:1], v[4:5] op_sel:[0,1] op_sel_hi:[1,0]
	v_mov_b32_e32 v4, v6
	v_mov_b32_e32 v5, v1
	;; [unrolled: 1-line block ×3, first 2 shown]
	ds_write2_b64 v34, v[2:3], v[4:5] offset1:225
	ds_write_b64 v34, v[0:1] offset:3600
	s_waitcnt lgkmcnt(0)
	s_barrier
	s_and_b64 exec, exec, s[2:3]
	s_cbranch_execz .LBB0_23
; %bb.22:
	global_load_dwordx2 v[8:9], v34, s[12:13]
	global_load_dwordx2 v[10:11], v34, s[12:13] offset:1080
	global_load_dwordx2 v[12:13], v34, s[12:13] offset:2160
	;; [unrolled: 1-line block ×3, first 2 shown]
	v_mov_b32_e32 v35, 0
	s_movk_i32 s0, 0x1000
	v_lshl_add_u64 v[0:1], s[12:13], 0, v[34:35]
	v_add_co_u32_e32 v0, vcc, s0, v0
	ds_read_b64 v[18:19], v34
	s_nop 0
	v_addc_co_u32_e32 v1, vcc, 0, v1, vcc
	global_load_dwordx2 v[16:17], v[0:1], off offset:224
	v_add_u32_e32 v0, 0x400, v34
	v_add_u32_e32 v4, 0xc00, v34
	v_mad_u64_u32 v[22:23], s[0:1], s6, v32, 0
	ds_read2_b64 v[0:3], v0 offset0:7 offset1:142
	ds_read2_b64 v[4:7], v4 offset0:21 offset1:156
	v_mad_u64_u32 v[24:25], s[2:3], s4, v33, 0
	v_mov_b32_e32 v26, v23
	v_mov_b32_e32 v28, v25
	v_mad_u64_u32 v[26:27], s[2:3], s7, v32, v[26:27]
	v_mov_b32_e32 v20, s8
	v_mov_b32_e32 v21, s9
	;; [unrolled: 3-line block ×3, first 2 shown]
	v_lshl_add_u64 v[20:21], v[22:23], 3, v[20:21]
	s_mov_b32 s0, 0xa0ce5129
	v_mov_b32_e32 v30, 0x438
	v_lshl_add_u64 v[20:21], v[24:25], 3, v[20:21]
	s_mov_b32 s1, 0x3f5845c8
	s_mul_i32 s6, s5, 0x438
	v_mad_u64_u32 v[22:23], s[2:3], s4, v30, v[20:21]
	v_add_u32_e32 v23, s6, v23
	v_mad_u64_u32 v[24:25], s[2:3], s4, v30, v[22:23]
	v_add_u32_e32 v25, s6, v25
	s_waitcnt vmcnt(4) lgkmcnt(2)
	v_mul_f32_e32 v26, v19, v9
	v_mul_f32_e32 v9, v18, v9
	s_waitcnt vmcnt(3) lgkmcnt(1)
	v_mul_f32_e32 v27, v1, v11
	v_mul_f32_e32 v11, v0, v11
	s_waitcnt vmcnt(2)
	v_mul_f32_e32 v28, v3, v13
	v_mul_f32_e32 v13, v2, v13
	s_waitcnt vmcnt(1) lgkmcnt(0)
	v_mul_f32_e32 v29, v5, v15
	v_mul_f32_e32 v15, v4, v15
	v_fmac_f32_e32 v26, v18, v8
	v_fma_f32 v8, v8, v19, -v9
	v_fmac_f32_e32 v27, v0, v10
	v_fma_f32 v9, v10, v1, -v11
	;; [unrolled: 2-line block ×4, first 2 shown]
	v_cvt_f64_f32_e32 v[0:1], v26
	v_cvt_f64_f32_e32 v[2:3], v8
	;; [unrolled: 1-line block ×6, first 2 shown]
	v_mul_f64 v[0:1], v[0:1], s[0:1]
	v_mul_f64 v[2:3], v[2:3], s[0:1]
	;; [unrolled: 1-line block ×6, first 2 shown]
	v_cvt_f32_f64_e32 v0, v[0:1]
	v_cvt_f32_f64_e32 v1, v[2:3]
	;; [unrolled: 1-line block ×6, first 2 shown]
	global_store_dwordx2 v[20:21], v[0:1], off
	global_store_dwordx2 v[22:23], v[2:3], off
	;; [unrolled: 1-line block ×3, first 2 shown]
	s_waitcnt vmcnt(3)
	v_mul_f32_e32 v2, v7, v17
	v_fmac_f32_e32 v2, v6, v16
	v_cvt_f64_f32_e32 v[2:3], v2
	v_mul_f64 v[2:3], v[2:3], s[0:1]
	v_cvt_f64_f32_e32 v[14:15], v29
	v_cvt_f64_f32_e32 v[18:19], v18
	v_cvt_f32_f64_e32 v2, v[2:3]
	v_mul_f32_e32 v3, v6, v17
	v_mul_f64 v[14:15], v[14:15], s[0:1]
	v_mul_f64 v[18:19], v[18:19], s[0:1]
	v_mad_u64_u32 v[0:1], s[2:3], s4, v30, v[24:25]
	v_fma_f32 v3, v16, v7, -v3
	v_cvt_f32_f64_e32 v8, v[14:15]
	v_cvt_f32_f64_e32 v9, v[18:19]
	v_add_u32_e32 v1, s6, v1
	v_cvt_f64_f32_e32 v[4:5], v3
	global_store_dwordx2 v[0:1], v[8:9], off
	v_mul_f64 v[4:5], v[4:5], s[0:1]
	v_mad_u64_u32 v[0:1], s[0:1], s4, v30, v[0:1]
	v_cvt_f32_f64_e32 v3, v[4:5]
	v_add_u32_e32 v1, s6, v1
	global_store_dwordx2 v[0:1], v[2:3], off
.LBB0_23:
	s_endpgm
	.section	.rodata,"a",@progbits
	.p2align	6, 0x0
	.amdhsa_kernel bluestein_single_fwd_len675_dim1_sp_op_CI_CI
		.amdhsa_group_segment_fixed_size 5400
		.amdhsa_private_segment_fixed_size 0
		.amdhsa_kernarg_size 104
		.amdhsa_user_sgpr_count 2
		.amdhsa_user_sgpr_dispatch_ptr 0
		.amdhsa_user_sgpr_queue_ptr 0
		.amdhsa_user_sgpr_kernarg_segment_ptr 1
		.amdhsa_user_sgpr_dispatch_id 0
		.amdhsa_user_sgpr_kernarg_preload_length 0
		.amdhsa_user_sgpr_kernarg_preload_offset 0
		.amdhsa_user_sgpr_private_segment_size 0
		.amdhsa_uses_dynamic_stack 0
		.amdhsa_enable_private_segment 0
		.amdhsa_system_sgpr_workgroup_id_x 1
		.amdhsa_system_sgpr_workgroup_id_y 0
		.amdhsa_system_sgpr_workgroup_id_z 0
		.amdhsa_system_sgpr_workgroup_info 0
		.amdhsa_system_vgpr_workitem_id 0
		.amdhsa_next_free_vgpr 61
		.amdhsa_next_free_sgpr 18
		.amdhsa_accum_offset 64
		.amdhsa_reserve_vcc 1
		.amdhsa_float_round_mode_32 0
		.amdhsa_float_round_mode_16_64 0
		.amdhsa_float_denorm_mode_32 3
		.amdhsa_float_denorm_mode_16_64 3
		.amdhsa_dx10_clamp 1
		.amdhsa_ieee_mode 1
		.amdhsa_fp16_overflow 0
		.amdhsa_tg_split 0
		.amdhsa_exception_fp_ieee_invalid_op 0
		.amdhsa_exception_fp_denorm_src 0
		.amdhsa_exception_fp_ieee_div_zero 0
		.amdhsa_exception_fp_ieee_overflow 0
		.amdhsa_exception_fp_ieee_underflow 0
		.amdhsa_exception_fp_ieee_inexact 0
		.amdhsa_exception_int_div_zero 0
	.end_amdhsa_kernel
	.text
.Lfunc_end0:
	.size	bluestein_single_fwd_len675_dim1_sp_op_CI_CI, .Lfunc_end0-bluestein_single_fwd_len675_dim1_sp_op_CI_CI
                                        ; -- End function
	.section	.AMDGPU.csdata,"",@progbits
; Kernel info:
; codeLenInByte = 4812
; NumSgprs: 24
; NumVgprs: 61
; NumAgprs: 0
; TotalNumVgprs: 61
; ScratchSize: 0
; MemoryBound: 0
; FloatMode: 240
; IeeeMode: 1
; LDSByteSize: 5400 bytes/workgroup (compile time only)
; SGPRBlocks: 2
; VGPRBlocks: 7
; NumSGPRsForWavesPerEU: 24
; NumVGPRsForWavesPerEU: 61
; AccumOffset: 64
; Occupancy: 8
; WaveLimiterHint : 1
; COMPUTE_PGM_RSRC2:SCRATCH_EN: 0
; COMPUTE_PGM_RSRC2:USER_SGPR: 2
; COMPUTE_PGM_RSRC2:TRAP_HANDLER: 0
; COMPUTE_PGM_RSRC2:TGID_X_EN: 1
; COMPUTE_PGM_RSRC2:TGID_Y_EN: 0
; COMPUTE_PGM_RSRC2:TGID_Z_EN: 0
; COMPUTE_PGM_RSRC2:TIDIG_COMP_CNT: 0
; COMPUTE_PGM_RSRC3_GFX90A:ACCUM_OFFSET: 15
; COMPUTE_PGM_RSRC3_GFX90A:TG_SPLIT: 0
	.text
	.p2alignl 6, 3212836864
	.fill 256, 4, 3212836864
	.type	__hip_cuid_516862c3b870b4d2,@object ; @__hip_cuid_516862c3b870b4d2
	.section	.bss,"aw",@nobits
	.globl	__hip_cuid_516862c3b870b4d2
__hip_cuid_516862c3b870b4d2:
	.byte	0                               ; 0x0
	.size	__hip_cuid_516862c3b870b4d2, 1

	.ident	"AMD clang version 19.0.0git (https://github.com/RadeonOpenCompute/llvm-project roc-6.4.0 25133 c7fe45cf4b819c5991fe208aaa96edf142730f1d)"
	.section	".note.GNU-stack","",@progbits
	.addrsig
	.addrsig_sym __hip_cuid_516862c3b870b4d2
	.amdgpu_metadata
---
amdhsa.kernels:
  - .agpr_count:     0
    .args:
      - .actual_access:  read_only
        .address_space:  global
        .offset:         0
        .size:           8
        .value_kind:     global_buffer
      - .actual_access:  read_only
        .address_space:  global
        .offset:         8
        .size:           8
        .value_kind:     global_buffer
      - .actual_access:  read_only
        .address_space:  global
        .offset:         16
        .size:           8
        .value_kind:     global_buffer
      - .actual_access:  read_only
        .address_space:  global
        .offset:         24
        .size:           8
        .value_kind:     global_buffer
      - .actual_access:  read_only
        .address_space:  global
        .offset:         32
        .size:           8
        .value_kind:     global_buffer
      - .offset:         40
        .size:           8
        .value_kind:     by_value
      - .address_space:  global
        .offset:         48
        .size:           8
        .value_kind:     global_buffer
      - .address_space:  global
        .offset:         56
        .size:           8
        .value_kind:     global_buffer
      - .address_space:  global
        .offset:         64
        .size:           8
        .value_kind:     global_buffer
      - .address_space:  global
        .offset:         72
        .size:           8
        .value_kind:     global_buffer
      - .offset:         80
        .size:           4
        .value_kind:     by_value
      - .address_space:  global
        .offset:         88
        .size:           8
        .value_kind:     global_buffer
      - .address_space:  global
        .offset:         96
        .size:           8
        .value_kind:     global_buffer
    .group_segment_fixed_size: 5400
    .kernarg_segment_align: 8
    .kernarg_segment_size: 104
    .language:       OpenCL C
    .language_version:
      - 2
      - 0
    .max_flat_workgroup_size: 225
    .name:           bluestein_single_fwd_len675_dim1_sp_op_CI_CI
    .private_segment_fixed_size: 0
    .sgpr_count:     24
    .sgpr_spill_count: 0
    .symbol:         bluestein_single_fwd_len675_dim1_sp_op_CI_CI.kd
    .uniform_work_group_size: 1
    .uses_dynamic_stack: false
    .vgpr_count:     61
    .vgpr_spill_count: 0
    .wavefront_size: 64
amdhsa.target:   amdgcn-amd-amdhsa--gfx950
amdhsa.version:
  - 1
  - 2
...

	.end_amdgpu_metadata
